;; amdgpu-corpus repo=ROCm/rocFFT kind=compiled arch=gfx906 opt=O3
	.text
	.amdgcn_target "amdgcn-amd-amdhsa--gfx906"
	.amdhsa_code_object_version 6
	.protected	fft_rtc_back_len200_factors_8_5_5_wgs_400_tpt_40_sp_op_CI_CI_sbcr_dirReg_intrinsicReadWrite ; -- Begin function fft_rtc_back_len200_factors_8_5_5_wgs_400_tpt_40_sp_op_CI_CI_sbcr_dirReg_intrinsicReadWrite
	.globl	fft_rtc_back_len200_factors_8_5_5_wgs_400_tpt_40_sp_op_CI_CI_sbcr_dirReg_intrinsicReadWrite
	.p2align	8
	.type	fft_rtc_back_len200_factors_8_5_5_wgs_400_tpt_40_sp_op_CI_CI_sbcr_dirReg_intrinsicReadWrite,@function
fft_rtc_back_len200_factors_8_5_5_wgs_400_tpt_40_sp_op_CI_CI_sbcr_dirReg_intrinsicReadWrite: ; @fft_rtc_back_len200_factors_8_5_5_wgs_400_tpt_40_sp_op_CI_CI_sbcr_dirReg_intrinsicReadWrite
; %bb.0:
	s_load_dwordx4 s[0:3], s[4:5], 0x10
	s_load_dwordx2 s[28:29], s[4:5], 0x20
	s_mov_b32 s7, 0
	s_mov_b64 s[26:27], 0
	s_waitcnt lgkmcnt(0)
	s_load_dwordx2 s[24:25], s[0:1], 0x8
	s_waitcnt lgkmcnt(0)
	s_add_u32 s8, s24, -1
	s_addc_u32 s9, s25, -1
	s_add_u32 s10, 0, 0x99986000
	s_addc_u32 s11, 0, 0x59
	s_mul_hi_u32 s13, s10, -10
	s_add_i32 s11, s11, 0x19999940
	s_sub_i32 s13, s13, s10
	s_mul_i32 s16, s11, -10
	s_mul_i32 s12, s10, -10
	s_add_i32 s13, s13, s16
	s_mul_hi_u32 s14, s11, s12
	s_mul_i32 s15, s11, s12
	s_mul_i32 s17, s10, s13
	s_mul_hi_u32 s12, s10, s12
	s_mul_hi_u32 s16, s10, s13
	s_add_u32 s12, s12, s17
	s_addc_u32 s16, 0, s16
	s_add_u32 s12, s12, s15
	s_mul_hi_u32 s17, s11, s13
	s_addc_u32 s12, s16, s14
	s_addc_u32 s14, s17, 0
	s_mul_i32 s13, s11, s13
	s_add_u32 s12, s12, s13
	v_mov_b32_e32 v1, s12
	s_addc_u32 s13, 0, s14
	v_add_co_u32_e32 v1, vcc, s10, v1
	s_cmp_lg_u64 vcc, 0
	s_addc_u32 s10, s11, s13
	v_readfirstlane_b32 s13, v1
	s_mul_i32 s12, s8, s10
	s_mul_hi_u32 s14, s8, s13
	s_mul_hi_u32 s11, s8, s10
	s_add_u32 s12, s14, s12
	s_addc_u32 s11, 0, s11
	s_mul_hi_u32 s15, s9, s13
	s_mul_i32 s13, s9, s13
	s_add_u32 s12, s12, s13
	s_mul_hi_u32 s14, s9, s10
	s_addc_u32 s11, s11, s15
	s_addc_u32 s12, s14, 0
	s_mul_i32 s10, s9, s10
	s_add_u32 s10, s11, s10
	s_addc_u32 s11, 0, s12
	s_add_u32 s12, s10, 1
	s_addc_u32 s13, s11, 0
	s_add_u32 s14, s10, 2
	s_mul_i32 s16, s11, 10
	s_mul_hi_u32 s17, s10, 10
	s_addc_u32 s15, s11, 0
	s_add_i32 s17, s17, s16
	s_mul_i32 s16, s10, 10
	v_mov_b32_e32 v1, s16
	v_sub_co_u32_e32 v1, vcc, s8, v1
	s_cmp_lg_u64 vcc, 0
	s_subb_u32 s8, s9, s17
	v_subrev_co_u32_e32 v2, vcc, 10, v1
	s_cmp_lg_u64 vcc, 0
	s_subb_u32 s9, s8, 0
	v_readfirstlane_b32 s16, v2
	s_cmp_gt_u32 s16, 9
	s_cselect_b32 s16, -1, 0
	s_cmp_eq_u32 s9, 0
	s_cselect_b32 s9, s16, -1
	s_cmp_lg_u32 s9, 0
	s_cselect_b32 s9, s14, s12
	s_cselect_b32 s12, s15, s13
	v_readfirstlane_b32 s13, v1
	s_cmp_gt_u32 s13, 9
	s_cselect_b32 s13, -1, 0
	s_cmp_eq_u32 s8, 0
	s_cselect_b32 s8, s13, -1
	s_cmp_lg_u32 s8, 0
	s_cselect_b32 s9, s9, s10
	s_cselect_b32 s8, s12, s11
	s_add_u32 s30, s9, 1
	s_addc_u32 s31, s8, 0
	v_mov_b32_e32 v1, s30
	v_mov_b32_e32 v2, s31
	v_cmp_lt_u64_e32 vcc, s[6:7], v[1:2]
	s_cbranch_vccnz .LBB0_2
; %bb.1:
	v_cvt_f32_u32_e32 v1, s30
	s_sub_i32 s8, 0, s30
	s_mov_b32 s27, s7
	v_rcp_iflag_f32_e32 v1, v1
	v_mul_f32_e32 v1, 0x4f7ffffe, v1
	v_cvt_u32_f32_e32 v1, v1
	v_readfirstlane_b32 s9, v1
	s_mul_i32 s8, s8, s9
	s_mul_hi_u32 s8, s9, s8
	s_add_i32 s9, s9, s8
	s_mul_hi_u32 s8, s6, s9
	s_mul_i32 s10, s8, s30
	s_sub_i32 s10, s6, s10
	s_add_i32 s9, s8, 1
	s_sub_i32 s11, s10, s30
	s_cmp_ge_u32 s10, s30
	s_cselect_b32 s8, s9, s8
	s_cselect_b32 s10, s11, s10
	s_add_i32 s9, s8, 1
	s_cmp_ge_u32 s10, s30
	s_cselect_b32 s26, s9, s8
.LBB0_2:
	s_load_dwordx4 s[12:15], s[4:5], 0x58
	s_load_dwordx4 s[16:19], s[4:5], 0x0
	;; [unrolled: 1-line block ×4, first 2 shown]
	s_mul_i32 s4, s26, s31
	s_mul_hi_u32 s5, s26, s30
	s_add_i32 s5, s5, s4
	s_mul_i32 s4, s26, s30
	s_sub_u32 s33, s6, s4
	s_subb_u32 s4, 0, s5
	s_mul_i32 s4, s4, 10
	s_waitcnt lgkmcnt(0)
	s_mul_hi_u32 s21, s33, 10
	s_add_i32 s21, s21, s4
	s_mul_i32 s33, s33, 10
	s_mul_i32 s4, s22, s21
	s_mul_hi_u32 s5, s22, s33
	s_add_i32 s4, s5, s4
	s_mul_i32 s5, s23, s33
	s_add_i32 s48, s4, s5
	s_mul_i32 s4, s10, s21
	s_mul_hi_u32 s5, s10, s33
	s_add_i32 s4, s5, s4
	s_mul_i32 s5, s11, s33
	s_add_i32 s23, s4, s5
	v_cmp_lt_u64_e64 s[4:5], s[18:19], 3
	s_mul_i32 s47, s22, s33
	s_mul_i32 s46, s10, s33
	s_and_b64 vcc, exec, s[4:5]
	s_cbranch_vccnz .LBB0_12
; %bb.3:
	s_add_u32 s4, s28, 16
	s_addc_u32 s5, s29, 0
	s_add_u32 s34, s2, 16
	s_addc_u32 s35, s3, 0
	s_add_u32 s36, s0, 16
	v_mov_b32_e32 v1, s18
	s_addc_u32 s37, s1, 0
	s_mov_b64 s[38:39], 2
	s_mov_b32 s40, 0
	v_mov_b32_e32 v2, s19
.LBB0_4:                                ; =>This Inner Loop Header: Depth=1
	s_load_dwordx2 s[42:43], s[36:37], 0x0
	s_waitcnt lgkmcnt(0)
	s_or_b64 s[0:1], s[26:27], s[42:43]
	s_mov_b32 s41, s1
	s_cmp_lg_u64 s[40:41], 0
	s_cbranch_scc0 .LBB0_9
; %bb.5:                                ;   in Loop: Header=BB0_4 Depth=1
	v_cvt_f32_u32_e32 v3, s42
	v_cvt_f32_u32_e32 v4, s43
	s_sub_u32 s0, 0, s42
	s_subb_u32 s1, 0, s43
	v_mac_f32_e32 v3, 0x4f800000, v4
	v_rcp_f32_e32 v3, v3
	v_mul_f32_e32 v3, 0x5f7ffffc, v3
	v_mul_f32_e32 v4, 0x2f800000, v3
	v_trunc_f32_e32 v4, v4
	v_mac_f32_e32 v3, 0xcf800000, v4
	v_cvt_u32_f32_e32 v4, v4
	v_cvt_u32_f32_e32 v3, v3
	v_readfirstlane_b32 s41, v4
	v_readfirstlane_b32 s44, v3
	s_mul_i32 s45, s0, s41
	s_mul_hi_u32 s50, s0, s44
	s_mul_i32 s49, s1, s44
	s_add_i32 s45, s50, s45
	s_mul_i32 s51, s0, s44
	s_add_i32 s45, s45, s49
	s_mul_hi_u32 s49, s44, s45
	s_mul_i32 s50, s44, s45
	s_mul_hi_u32 s44, s44, s51
	s_add_u32 s44, s44, s50
	s_addc_u32 s49, 0, s49
	s_mul_hi_u32 s52, s41, s51
	s_mul_i32 s51, s41, s51
	s_add_u32 s44, s44, s51
	s_mul_hi_u32 s50, s41, s45
	s_addc_u32 s44, s49, s52
	s_addc_u32 s49, s50, 0
	s_mul_i32 s45, s41, s45
	s_add_u32 s44, s44, s45
	s_addc_u32 s45, 0, s49
	v_add_co_u32_e32 v3, vcc, s44, v3
	s_cmp_lg_u64 vcc, 0
	s_addc_u32 s41, s41, s45
	v_readfirstlane_b32 s45, v3
	s_mul_i32 s44, s0, s41
	s_mul_hi_u32 s49, s0, s45
	s_add_i32 s44, s49, s44
	s_mul_i32 s1, s1, s45
	s_add_i32 s44, s44, s1
	s_mul_i32 s0, s0, s45
	s_mul_hi_u32 s49, s41, s0
	s_mul_i32 s50, s41, s0
	s_mul_i32 s52, s45, s44
	s_mul_hi_u32 s0, s45, s0
	s_mul_hi_u32 s51, s45, s44
	s_add_u32 s0, s0, s52
	s_addc_u32 s45, 0, s51
	s_add_u32 s0, s0, s50
	s_mul_hi_u32 s1, s41, s44
	s_addc_u32 s0, s45, s49
	s_addc_u32 s1, s1, 0
	s_mul_i32 s44, s41, s44
	s_add_u32 s0, s0, s44
	s_addc_u32 s1, 0, s1
	v_add_co_u32_e32 v3, vcc, s0, v3
	s_cmp_lg_u64 vcc, 0
	s_addc_u32 s0, s41, s1
	v_readfirstlane_b32 s44, v3
	s_mul_i32 s41, s26, s0
	s_mul_hi_u32 s45, s26, s44
	s_mul_hi_u32 s1, s26, s0
	s_add_u32 s41, s45, s41
	s_addc_u32 s1, 0, s1
	s_mul_hi_u32 s49, s27, s44
	s_mul_i32 s44, s27, s44
	s_add_u32 s41, s41, s44
	s_mul_hi_u32 s45, s27, s0
	s_addc_u32 s1, s1, s49
	s_addc_u32 s41, s45, 0
	s_mul_i32 s0, s27, s0
	s_add_u32 s44, s1, s0
	s_addc_u32 s41, 0, s41
	s_mul_i32 s0, s42, s41
	s_mul_hi_u32 s1, s42, s44
	s_add_i32 s0, s1, s0
	s_mul_i32 s1, s43, s44
	s_add_i32 s45, s0, s1
	s_mul_i32 s1, s42, s44
	v_mov_b32_e32 v3, s1
	s_sub_i32 s0, s27, s45
	v_sub_co_u32_e32 v3, vcc, s26, v3
	s_cmp_lg_u64 vcc, 0
	s_subb_u32 s49, s0, s43
	v_subrev_co_u32_e64 v4, s[0:1], s42, v3
	s_cmp_lg_u64 s[0:1], 0
	s_subb_u32 s0, s49, 0
	s_cmp_ge_u32 s0, s43
	v_readfirstlane_b32 s49, v4
	s_cselect_b32 s1, -1, 0
	s_cmp_ge_u32 s49, s42
	s_cselect_b32 s49, -1, 0
	s_cmp_eq_u32 s0, s43
	s_cselect_b32 s0, s49, s1
	s_add_u32 s1, s44, 1
	s_addc_u32 s49, s41, 0
	s_add_u32 s50, s44, 2
	s_addc_u32 s51, s41, 0
	s_cmp_lg_u32 s0, 0
	s_cselect_b32 s0, s50, s1
	s_cselect_b32 s1, s51, s49
	s_cmp_lg_u64 vcc, 0
	s_subb_u32 s45, s27, s45
	s_cmp_ge_u32 s45, s43
	v_readfirstlane_b32 s50, v3
	s_cselect_b32 s49, -1, 0
	s_cmp_ge_u32 s50, s42
	s_cselect_b32 s50, -1, 0
	s_cmp_eq_u32 s45, s43
	s_cselect_b32 s45, s50, s49
	s_cmp_lg_u32 s45, 0
	s_cselect_b32 s1, s1, s41
	s_cselect_b32 s0, s0, s44
	s_cbranch_execnz .LBB0_7
.LBB0_6:                                ;   in Loop: Header=BB0_4 Depth=1
	v_cvt_f32_u32_e32 v3, s42
	s_sub_i32 s0, 0, s42
	v_rcp_iflag_f32_e32 v3, v3
	v_mul_f32_e32 v3, 0x4f7ffffe, v3
	v_cvt_u32_f32_e32 v3, v3
	v_readfirstlane_b32 s1, v3
	s_mul_i32 s0, s0, s1
	s_mul_hi_u32 s0, s1, s0
	s_add_i32 s1, s1, s0
	s_mul_hi_u32 s0, s26, s1
	s_mul_i32 s41, s0, s42
	s_sub_i32 s41, s26, s41
	s_add_i32 s1, s0, 1
	s_sub_i32 s44, s41, s42
	s_cmp_ge_u32 s41, s42
	s_cselect_b32 s0, s1, s0
	s_cselect_b32 s41, s44, s41
	s_add_i32 s1, s0, 1
	s_cmp_ge_u32 s41, s42
	s_cselect_b32 s0, s1, s0
	s_mov_b32 s1, s40
.LBB0_7:                                ;   in Loop: Header=BB0_4 Depth=1
	s_mul_i32 s31, s42, s31
	s_mul_hi_u32 s41, s42, s30
	s_add_i32 s31, s41, s31
	s_mul_i32 s41, s43, s30
	s_add_i32 s31, s31, s41
	s_mul_i32 s41, s0, s43
	s_mul_hi_u32 s43, s0, s42
	s_load_dwordx2 s[44:45], s[34:35], 0x0
	s_add_i32 s41, s43, s41
	s_mul_i32 s43, s1, s42
	s_mul_i32 s30, s42, s30
	s_add_i32 s41, s41, s43
	s_mul_i32 s42, s0, s42
	s_sub_u32 s42, s26, s42
	s_subb_u32 s41, s27, s41
	s_waitcnt lgkmcnt(0)
	s_mul_i32 s26, s44, s41
	s_mul_hi_u32 s27, s44, s42
	s_add_i32 s43, s27, s26
	s_load_dwordx2 s[26:27], s[4:5], 0x0
	s_mul_i32 s45, s45, s42
	s_add_i32 s43, s43, s45
	s_mul_i32 s44, s44, s42
	s_add_u32 s47, s44, s47
	s_addc_u32 s48, s43, s48
	s_waitcnt lgkmcnt(0)
	s_mul_i32 s41, s26, s41
	s_mul_hi_u32 s43, s26, s42
	s_add_i32 s41, s43, s41
	s_mul_i32 s27, s27, s42
	s_add_i32 s41, s41, s27
	s_mul_i32 s26, s26, s42
	s_add_u32 s46, s26, s46
	s_addc_u32 s23, s41, s23
	s_add_u32 s38, s38, 1
	s_addc_u32 s39, s39, 0
	;; [unrolled: 2-line block ×4, first 2 shown]
	v_cmp_ge_u64_e32 vcc, s[38:39], v[1:2]
	s_add_u32 s36, s36, 8
	s_addc_u32 s37, s37, 0
	s_cbranch_vccnz .LBB0_10
; %bb.8:                                ;   in Loop: Header=BB0_4 Depth=1
	s_mov_b64 s[26:27], s[0:1]
	s_branch .LBB0_4
.LBB0_9:                                ;   in Loop: Header=BB0_4 Depth=1
                                        ; implicit-def: $sgpr0_sgpr1
	s_branch .LBB0_6
.LBB0_10:
	v_mov_b32_e32 v1, s30
	v_mov_b32_e32 v2, s31
	v_cmp_lt_u64_e32 vcc, s[6:7], v[1:2]
	s_mov_b64 s[26:27], 0
	s_cbranch_vccnz .LBB0_12
; %bb.11:
	v_cvt_f32_u32_e32 v1, s30
	s_sub_i32 s0, 0, s30
	v_rcp_iflag_f32_e32 v1, v1
	v_mul_f32_e32 v1, 0x4f7ffffe, v1
	v_cvt_u32_f32_e32 v1, v1
	v_readfirstlane_b32 s1, v1
	s_mul_i32 s0, s0, s1
	s_mul_hi_u32 s0, s1, s0
	s_add_i32 s1, s1, s0
	s_mul_hi_u32 s0, s6, s1
	s_mul_i32 s4, s0, s30
	s_sub_i32 s4, s6, s4
	s_add_i32 s1, s0, 1
	s_sub_i32 s5, s4, s30
	s_cmp_ge_u32 s4, s30
	s_cselect_b32 s0, s1, s0
	s_cselect_b32 s4, s5, s4
	s_add_i32 s1, s0, 1
	s_cmp_ge_u32 s4, s30
	s_cselect_b32 s26, s1, s0
.LBB0_12:
	s_lshl_b64 s[0:1], s[18:19], 3
	s_add_u32 s2, s2, s0
	s_addc_u32 s3, s3, s1
	s_load_dword s2, s[2:3], 0x0
	v_mul_u32_u24_e32 v1, 0x199a, v0
	v_lshrrev_b32_e32 v17, 16, v1
	v_mul_lo_u16_e32 v1, 10, v17
	v_sub_u16_e32 v18, v0, v1
	s_waitcnt lgkmcnt(0)
	s_mul_i32 s2, s2, s26
	s_add_i32 s4, s2, s47
	s_add_u32 s18, s28, s0
	s_addc_u32 s19, s29, s1
	v_mov_b32_e32 v2, s21
	v_add_co_u32_e64 v1, s[2:3], s33, v18
	s_add_u32 s28, s33, 10
	v_mov_b32_e32 v19, s24
	s_movk_i32 s5, 0xfa
	v_addc_co_u32_e64 v2, s[2:3], 0, v2, s[2:3]
	s_addc_u32 s29, s21, 0
	v_mov_b32_e32 v20, s25
	v_cmp_gt_u32_e64 s[2:3], s5, v0
	v_cmp_le_u64_e32 vcc, s[28:29], v[19:20]
	s_movk_i32 s0, 0xf9
	v_cndmask_b32_e64 v4, 0, 1, s[2:3]
	v_cmp_gt_u64_e64 s[2:3], s[24:25], v[1:2]
	v_mul_lo_u32 v9, s22, v18
	v_mul_lo_u32 v3, s20, v17
	v_cmp_lt_u32_e64 s[0:1], s0, v0
	v_cndmask_b32_e64 v1, 0, 1, s[2:3]
	s_or_b64 vcc, s[0:1], vcc
	v_cndmask_b32_e32 v1, v1, v4, vcc
	v_and_b32_e32 v1, 1, v1
	v_add_lshl_u32 v2, v9, v3, 3
	v_cmp_eq_u32_e32 vcc, 1, v1
	v_add_u32_e32 v1, 25, v17
	v_cndmask_b32_e32 v10, -1, v2, vcc
	v_mul_lo_u32 v1, s20, v1
	v_add_u32_e32 v2, 50, v17
	v_mul_lo_u32 v2, s20, v2
	v_add_u32_e32 v3, 0x4b, v17
	v_mul_lo_u32 v3, s20, v3
	v_add_lshl_u32 v1, v9, v1, 3
	v_cndmask_b32_e32 v11, -1, v1, vcc
	v_add_lshl_u32 v1, v9, v2, 3
	v_cndmask_b32_e32 v12, -1, v1, vcc
	;; [unrolled: 2-line block ×3, first 2 shown]
	v_add_u32_e32 v1, 0x64, v17
	s_lshl_b32 s2, s4, 3
	s_mov_b32 s7, 0x20000
	s_mov_b32 s6, -2
	s_mov_b32 s4, s12
	s_mov_b32 s5, s13
	v_mul_lo_u32 v14, s20, v1
	v_add_u32_e32 v1, 0x7d, v17
	v_mul_lo_u32 v15, s20, v1
	buffer_load_dwordx2 v[3:4], v10, s[4:7], s2 offen
	buffer_load_dwordx2 v[5:6], v11, s[4:7], s2 offen
	;; [unrolled: 1-line block ×4, first 2 shown]
	v_add_u32_e32 v11, 0x96, v17
	v_add_u32_e32 v12, 0xaf, v17
	v_mul_lo_u32 v11, s20, v11
	v_mul_lo_u32 v12, s20, v12
	v_add_lshl_u32 v10, v9, v14, 3
	v_cndmask_b32_e32 v21, -1, v10, vcc
	v_add_lshl_u32 v10, v9, v15, 3
	v_cndmask_b32_e32 v22, -1, v10, vcc
	v_add_lshl_u32 v10, v9, v11, 3
	v_add_lshl_u32 v9, v9, v12, 3
	v_cndmask_b32_e32 v23, -1, v10, vcc
	v_cndmask_b32_e32 v24, -1, v9, vcc
	buffer_load_dwordx2 v[9:10], v21, s[4:7], s2 offen
	buffer_load_dwordx2 v[13:14], v22, s[4:7], s2 offen
	;; [unrolled: 1-line block ×4, first 2 shown]
	s_load_dwordx2 s[2:3], s[18:19], 0x0
	v_cmp_gt_u64_e32 vcc, s[28:29], v[19:20]
                                        ; implicit-def: $vgpr19
	s_and_saveexec_b64 s[4:5], s[0:1]
	s_xor_b64 s[0:1], exec, s[4:5]
; %bb.13:
	v_mul_u32_u24_e32 v19, 0x50, v17
                                        ; implicit-def: $vgpr3_vgpr4
                                        ; implicit-def: $vgpr9_vgpr10
                                        ; implicit-def: $vgpr7_vgpr8
                                        ; implicit-def: $vgpr11_vgpr12
                                        ; implicit-def: $vgpr5_vgpr6
                                        ; implicit-def: $vgpr13_vgpr14
                                        ; implicit-def: $vgpr1_vgpr2
                                        ; implicit-def: $vgpr15_vgpr16
; %bb.14:
	s_or_saveexec_b64 s[0:1], s[0:1]
	v_lshlrev_b32_e32 v18, 3, v18
	s_xor_b64 exec, exec, s[0:1]
	s_cbranch_execz .LBB0_16
; %bb.15:
	s_waitcnt vmcnt(1)
	v_sub_f32_e32 v11, v7, v11
	v_sub_f32_e32 v12, v8, v12
	;; [unrolled: 1-line block ×4, first 2 shown]
	s_waitcnt vmcnt(0)
	v_sub_f32_e32 v15, v1, v15
	v_sub_f32_e32 v16, v2, v16
	;; [unrolled: 1-line block ×4, first 2 shown]
	v_fma_f32 v7, v7, 2.0, -v11
	v_fma_f32 v8, v8, 2.0, -v12
	v_sub_f32_e32 v11, v10, v11
	v_add_f32_e32 v12, v9, v12
	v_fma_f32 v20, v3, 2.0, -v9
	v_fma_f32 v21, v1, 2.0, -v15
	;; [unrolled: 1-line block ×3, first 2 shown]
	v_sub_f32_e32 v15, v14, v15
	v_add_f32_e32 v16, v13, v16
	v_fma_f32 v3, v10, 2.0, -v11
	v_fma_f32 v9, v9, 2.0, -v12
	;; [unrolled: 1-line block ×5, first 2 shown]
	v_mov_b32_e32 v2, v3
	v_mov_b32_e32 v1, v9
	v_fmac_f32_e32 v2, 0xbf3504f3, v4
	v_fmac_f32_e32 v1, 0xbf3504f3, v10
	v_fma_f32 v5, v5, 2.0, -v13
	v_fma_f32 v6, v6, 2.0, -v14
	v_fmac_f32_e32 v2, 0xbf3504f3, v10
	v_fmac_f32_e32 v1, 0x3f3504f3, v4
	v_fma_f32 v4, v3, 2.0, -v2
	v_fma_f32 v3, v9, 2.0, -v1
	v_sub_f32_e32 v13, v19, v8
	v_sub_f32_e32 v9, v5, v21
	;; [unrolled: 1-line block ×4, first 2 shown]
	v_fma_f32 v7, v19, 2.0, -v13
	v_fma_f32 v6, v6, 2.0, -v21
	;; [unrolled: 1-line block ×4, first 2 shown]
	v_sub_f32_e32 v6, v7, v6
	v_sub_f32_e32 v5, v10, v5
	v_mul_u32_u24_e32 v19, 0x50, v17
	v_fma_f32 v8, v7, 2.0, -v6
	v_fma_f32 v7, v10, 2.0, -v5
	v_lshlrev_b32_e32 v10, 3, v19
	v_add3_u32 v20, 0, v10, v18
	ds_write2_b64 v20, v[7:8], v[3:4] offset1:10
	v_mov_b32_e32 v4, v11
	v_mov_b32_e32 v3, v12
	v_fmac_f32_e32 v4, 0x3f3504f3, v15
	v_fmac_f32_e32 v3, 0x3f3504f3, v16
	v_fmac_f32_e32 v4, 0xbf3504f3, v16
	v_fmac_f32_e32 v3, 0x3f3504f3, v15
	v_sub_f32_e32 v10, v13, v9
	v_add_f32_e32 v9, v14, v21
	v_fma_f32 v8, v11, 2.0, -v4
	v_fma_f32 v7, v12, 2.0, -v3
	;; [unrolled: 1-line block ×4, first 2 shown]
	ds_write2_b64 v20, v[11:12], v[7:8] offset0:20 offset1:30
	ds_write2_b64 v20, v[5:6], v[1:2] offset0:40 offset1:50
	;; [unrolled: 1-line block ×3, first 2 shown]
.LBB0_16:
	s_or_b64 exec, exec, s[0:1]
	v_and_b32_e32 v20, 7, v17
	s_waitcnt vmcnt(3)
	v_lshlrev_b32_e32 v9, 5, v20
	s_waitcnt vmcnt(0) lgkmcnt(0)
	s_barrier
	global_load_dwordx4 v[1:4], v9, s[16:17]
	global_load_dwordx4 v[5:8], v9, s[16:17] offset:16
	v_add3_u32 v19, 0, v19, v18
	ds_read_b64 v[9:10], v19 offset:3200
	ds_read_b64 v[11:12], v19 offset:6400
	;; [unrolled: 1-line block ×4, first 2 shown]
	s_mul_i32 s0, s3, s26
	s_mul_hi_u32 s1, s2, s26
	s_mul_i32 s2, s2, s26
	s_add_i32 s1, s1, s0
	s_add_u32 s0, s2, s46
	s_movk_i32 s2, 0xa0
	s_addc_u32 s1, s1, s23
	s_andn2_b64 vcc, exec, vcc
	s_waitcnt vmcnt(1) lgkmcnt(3)
	v_mul_f32_e32 v21, v2, v10
	v_mul_f32_e32 v2, v2, v9
	v_fmac_f32_e32 v21, v1, v9
	v_fma_f32 v9, v1, v10, -v2
	s_waitcnt lgkmcnt(2)
	v_mul_f32_e32 v1, v4, v11
	v_fma_f32 v10, v3, v12, -v1
	ds_read2_b32 v[1:2], v19 offset1:1
	v_mul_f32_e32 v22, v4, v12
	v_fmac_f32_e32 v22, v3, v11
	s_waitcnt vmcnt(0) lgkmcnt(2)
	v_mul_f32_e32 v11, v6, v14
	v_mul_f32_e32 v3, v6, v13
	s_waitcnt lgkmcnt(1)
	v_mul_f32_e32 v6, v8, v16
	v_mul_f32_e32 v4, v8, v15
	v_fmac_f32_e32 v11, v5, v13
	v_fmac_f32_e32 v6, v7, v15
	v_fma_f32 v8, v5, v14, -v3
	v_fma_f32 v12, v7, v16, -v4
	v_add_f32_e32 v3, v22, v11
	v_sub_f32_e32 v4, v21, v22
	v_sub_f32_e32 v7, v6, v11
	v_add_f32_e32 v15, v21, v6
	v_sub_f32_e32 v16, v22, v21
	v_sub_f32_e32 v23, v11, v6
	s_waitcnt lgkmcnt(0)
	v_add_f32_e32 v5, v21, v1
	v_add_f32_e32 v24, v4, v7
	v_fma_f32 v3, -0.5, v3, v1
	v_fma_f32 v1, -0.5, v15, v1
	v_add_f32_e32 v15, v16, v23
	v_sub_f32_e32 v7, v9, v10
	v_sub_f32_e32 v16, v12, v8
	v_add_f32_e32 v16, v7, v16
	v_add_f32_e32 v7, v2, v9
	v_sub_f32_e32 v13, v9, v12
	v_sub_f32_e32 v14, v10, v8
	v_add_f32_e32 v4, v10, v8
	v_add_f32_e32 v7, v7, v10
	v_sub_f32_e32 v10, v10, v9
	v_add_f32_e32 v9, v9, v12
	v_fma_f32 v4, -0.5, v4, v2
	v_add_f32_e32 v5, v5, v22
	v_fmac_f32_e32 v2, -0.5, v9
	v_sub_f32_e32 v9, v8, v12
	v_sub_f32_e32 v22, v22, v11
	v_add_f32_e32 v23, v10, v9
	v_add_f32_e32 v9, v5, v11
	v_lshrrev_b32_e32 v11, 3, v17
	v_sub_f32_e32 v21, v21, v6
	v_mov_b32_e32 v5, v3
	v_add_f32_e32 v8, v7, v8
	v_add_f32_e32 v7, v9, v6
	v_mov_b32_e32 v6, v4
	v_mul_u32_u24_e32 v11, 40, v11
	v_mov_b32_e32 v9, v1
	v_fmac_f32_e32 v1, 0xbf737871, v14
	v_mov_b32_e32 v10, v2
	v_fmac_f32_e32 v5, 0xbf737871, v13
	v_fmac_f32_e32 v6, 0x3f737871, v21
	v_or_b32_e32 v11, v11, v20
	v_fmac_f32_e32 v3, 0x3f737871, v13
	v_fmac_f32_e32 v4, 0xbf737871, v21
	;; [unrolled: 1-line block ×8, first 2 shown]
	v_mul_u32_u24_e32 v11, 0x50, v11
	v_add_f32_e32 v8, v8, v12
	v_fmac_f32_e32 v3, 0x3f167918, v14
	v_fmac_f32_e32 v4, 0xbf167918, v22
	;; [unrolled: 1-line block ×8, first 2 shown]
	v_add3_u32 v11, 0, v11, v18
	v_fmac_f32_e32 v3, 0x3e9e377a, v24
	v_fmac_f32_e32 v4, 0x3e9e377a, v16
	;; [unrolled: 1-line block ×5, first 2 shown]
	s_barrier
	ds_write2_b64 v11, v[7:8], v[5:6] offset1:80
	ds_write2_b64 v11, v[9:10], v[1:2] offset0:160 offset1:240
	ds_write_b64 v11, v[3:4] offset:2560
	v_mul_lo_u16_e32 v1, 13, v17
	v_lshrrev_b16_e32 v21, 9, v1
	v_mul_lo_u16_e32 v1, 40, v21
	v_sub_u16_e32 v1, v17, v1
	v_lshlrev_b16_e32 v1, 2, v1
	v_and_b32_e32 v1, 0xfc, v1
	v_lshlrev_b32_e32 v9, 3, v1
	s_waitcnt lgkmcnt(0)
	s_barrier
	global_load_dwordx4 v[1:4], v9, s[16:17] offset:256
	global_load_dwordx4 v[5:8], v9, s[16:17] offset:272
	ds_read_b64 v[9:10], v19 offset:3200
	ds_read2_b32 v[11:12], v19 offset1:1
	ds_read_b64 v[13:14], v19 offset:6400
	ds_read_b64 v[15:16], v19 offset:9600
	;; [unrolled: 1-line block ×3, first 2 shown]
	s_waitcnt vmcnt(0) lgkmcnt(0)
	s_barrier
	v_mul_f32_e32 v22, v2, v10
	v_mul_f32_e32 v2, v2, v9
	v_fmac_f32_e32 v22, v1, v9
	v_fma_f32 v9, v1, v10, -v2
	v_mul_f32_e32 v10, v4, v14
	v_mul_f32_e32 v1, v4, v13
	v_fmac_f32_e32 v10, v3, v13
	v_fma_f32 v13, v3, v14, -v1
	v_mul_f32_e32 v14, v6, v16
	v_mul_f32_e32 v4, v8, v20
	;; [unrolled: 1-line block ×4, first 2 shown]
	v_fmac_f32_e32 v14, v5, v15
	v_fmac_f32_e32 v4, v7, v19
	v_fma_f32 v15, v5, v16, -v1
	v_fma_f32 v16, v7, v20, -v2
	v_add_f32_e32 v2, v22, v11
	v_add_f32_e32 v1, v10, v14
	v_sub_f32_e32 v3, v22, v10
	v_sub_f32_e32 v5, v4, v14
	v_add_f32_e32 v6, v22, v4
	v_sub_f32_e32 v7, v10, v22
	v_sub_f32_e32 v20, v14, v4
	v_add_f32_e32 v24, v3, v5
	v_fma_f32 v1, -0.5, v1, v11
	v_fma_f32 v11, -0.5, v6, v11
	v_add_f32_e32 v3, v13, v15
	v_add_f32_e32 v5, v2, v10
	v_sub_f32_e32 v19, v13, v15
	v_add_f32_e32 v20, v7, v20
	v_fma_f32 v2, -0.5, v3, v12
	v_add_f32_e32 v5, v5, v14
	v_mov_b32_e32 v7, v11
	v_sub_f32_e32 v8, v9, v16
	v_sub_f32_e32 v22, v22, v4
	v_mov_b32_e32 v3, v1
	v_add_f32_e32 v5, v5, v4
	v_fmac_f32_e32 v11, 0xbf737871, v19
	v_fmac_f32_e32 v7, 0x3f737871, v19
	v_mov_b32_e32 v4, v2
	v_fmac_f32_e32 v1, 0x3f737871, v8
	v_fmac_f32_e32 v3, 0xbf737871, v8
	;; [unrolled: 1-line block ×5, first 2 shown]
	v_sub_f32_e32 v10, v10, v14
	v_sub_f32_e32 v8, v9, v13
	;; [unrolled: 1-line block ×3, first 2 shown]
	v_fmac_f32_e32 v2, 0xbf737871, v22
	v_fmac_f32_e32 v4, 0x3f167918, v10
	v_add_f32_e32 v8, v8, v14
	v_fmac_f32_e32 v2, 0xbf167918, v10
	v_fmac_f32_e32 v4, 0x3e9e377a, v8
	;; [unrolled: 1-line block ×3, first 2 shown]
	v_add_f32_e32 v8, v9, v16
	v_add_f32_e32 v23, v12, v9
	v_fmac_f32_e32 v12, -0.5, v8
	v_mov_b32_e32 v8, v12
	v_add_f32_e32 v6, v23, v13
	v_fmac_f32_e32 v8, 0xbf737871, v10
	v_sub_f32_e32 v9, v13, v9
	v_sub_f32_e32 v13, v15, v16
	v_fmac_f32_e32 v12, 0x3f737871, v10
	v_fmac_f32_e32 v8, 0x3f167918, v22
	v_add_f32_e32 v9, v9, v13
	v_fmac_f32_e32 v12, 0xbf167918, v22
	v_fmac_f32_e32 v8, 0x3e9e377a, v9
	;; [unrolled: 1-line block ×3, first 2 shown]
	v_mad_u32_u24 v9, v21, s2, v17
	v_add_f32_e32 v6, v6, v15
	v_fmac_f32_e32 v1, 0x3f167918, v19
	v_mul_u32_u24_e32 v9, 0x50, v9
	v_add_f32_e32 v6, v6, v16
	v_fmac_f32_e32 v3, 0xbf167918, v19
	v_fmac_f32_e32 v1, 0x3e9e377a, v24
	v_add3_u32 v9, 0, v9, v18
	s_movk_i32 s2, 0x148
	v_fmac_f32_e32 v11, 0x3e9e377a, v20
	v_fmac_f32_e32 v3, 0x3e9e377a, v24
	;; [unrolled: 1-line block ×3, first 2 shown]
	ds_write_b64 v9, v[5:6]
	ds_write_b64 v9, v[3:4] offset:3200
	ds_write_b64 v9, v[7:8] offset:6400
	;; [unrolled: 1-line block ×4, first 2 shown]
	v_mul_u32_u24_sdwa v1, v0, s2 dst_sel:DWORD dst_unused:UNUSED_PAD src0_sel:WORD_0 src1_sel:DWORD
	v_lshrrev_b32_e32 v2, 16, v1
	v_mul_lo_u16_e32 v1, 0xc8, v2
	v_sub_u16_e32 v3, v0, v1
	s_mov_b64 s[2:3], -1
	s_waitcnt lgkmcnt(0)
	s_barrier
	s_cbranch_vccz .LBB0_19
; %bb.17:
	s_andn2_b64 vcc, exec, s[2:3]
	s_cbranch_vccz .LBB0_23
.LBB0_18:
	s_endpgm
.LBB0_19:
	v_mov_b32_e32 v1, s21
	v_add_co_u32_e32 v0, vcc, s33, v2
	v_addc_co_u32_e32 v1, vcc, 0, v1, vcc
	v_cmp_gt_u64_e32 vcc, s[24:25], v[0:1]
	s_and_saveexec_b64 s[2:3], vcc
	s_cbranch_execz .LBB0_22
; %bb.20:
	v_mad_u64_u32 v[4:5], s[4:5], s8, v3, 0
	v_mul_u32_u24_e32 v7, 0x50, v3
	s_mov_b32 s6, 0
	v_mad_u64_u32 v[5:6], s[4:5], s9, v3, v[5:6]
	s_lshl_b64 s[4:5], s[0:1], 3
	s_add_u32 s4, s14, s4
	v_lshlrev_b64 v[4:5], 3, v[4:5]
	s_addc_u32 s5, s15, s5
	v_mov_b32_e32 v6, s5
	v_add_co_u32_e32 v4, vcc, s4, v4
	v_addc_co_u32_e32 v5, vcc, v6, v5, vcc
	v_lshlrev_b32_e32 v6, 3, v2
	v_add3_u32 v6, v7, v6, 0
	s_mov_b64 s[4:5], 0
.LBB0_21:                               ; =>This Inner Loop Header: Depth=1
	v_add_u32_e32 v13, s6, v2
	v_mad_u64_u32 v[9:10], s[12:13], s10, v13, 0
	s_add_i32 s6, s6, 2
	v_add_co_u32_e32 v11, vcc, s6, v0
	v_addc_co_u32_e32 v12, vcc, 0, v1, vcc
	v_cmp_le_u64_e32 vcc, s[24:25], v[11:12]
	v_mad_u64_u32 v[10:11], s[12:13], s11, v13, v[10:11]
	ds_read_b64 v[7:8], v6
	s_or_b64 s[4:5], vcc, s[4:5]
	v_lshlrev_b64 v[9:10], 3, v[9:10]
	v_add_u32_e32 v6, 16, v6
	v_add_co_u32_e32 v9, vcc, v4, v9
	v_addc_co_u32_e32 v10, vcc, v5, v10, vcc
	s_waitcnt lgkmcnt(0)
	global_store_dwordx2 v[9:10], v[7:8], off
	s_andn2_b64 exec, exec, s[4:5]
	s_cbranch_execnz .LBB0_21
.LBB0_22:
	s_or_b64 exec, exec, s[2:3]
	s_cbranch_execnz .LBB0_18
.LBB0_23:
	v_mad_u64_u32 v[0:1], s[2:3], s8, v3, 0
	v_mad_u64_u32 v[4:5], s[2:3], s10, v2, 0
	;; [unrolled: 1-line block ×3, first 2 shown]
	v_mov_b32_e32 v1, v5
	v_mad_u64_u32 v[7:8], s[2:3], s11, v2, v[1:2]
	v_mov_b32_e32 v1, v6
	s_lshl_b64 s[0:1], s[0:1], 3
	s_add_u32 s0, s14, s0
	v_lshlrev_b64 v[0:1], 3, v[0:1]
	v_mul_u32_u24_e32 v3, 0x50, v3
	v_lshlrev_b32_e32 v6, 3, v2
	s_addc_u32 s1, s15, s1
	v_add_u32_e32 v13, 2, v2
	v_add3_u32 v15, 0, v3, v6
	v_mov_b32_e32 v3, s1
	v_add_co_u32_e32 v16, vcc, s0, v0
	v_mad_u64_u32 v[11:12], s[0:1], s10, v13, 0
	v_mov_b32_e32 v5, v7
	v_or_b32_e32 v18, 4, v2
	v_mad_u64_u32 v[12:13], s[0:1], s11, v13, v[12:13]
	v_addc_co_u32_e32 v17, vcc, v3, v1, vcc
	v_lshlrev_b64 v[0:1], 3, v[4:5]
	ds_read2_b64 v[3:6], v15 offset1:2
	ds_read2_b64 v[7:10], v15 offset0:4 offset1:6
	v_mad_u64_u32 v[13:14], s[0:1], s10, v18, 0
	v_add_co_u32_e32 v0, vcc, v16, v0
	v_addc_co_u32_e32 v1, vcc, v17, v1, vcc
	s_waitcnt lgkmcnt(1)
	global_store_dwordx2 v[0:1], v[3:4], off
	v_lshlrev_b64 v[0:1], 3, v[11:12]
	v_mov_b32_e32 v3, v14
	v_mad_u64_u32 v[3:4], s[0:1], s11, v18, v[3:4]
	v_add_co_u32_e32 v0, vcc, v16, v0
	v_addc_co_u32_e32 v1, vcc, v17, v1, vcc
	global_store_dwordx2 v[0:1], v[5:6], off
	v_add_u32_e32 v5, 6, v2
	v_mov_b32_e32 v14, v3
	v_mad_u64_u32 v[3:4], s[0:1], s10, v5, 0
	v_or_b32_e32 v11, 8, v2
	v_lshlrev_b64 v[0:1], 3, v[13:14]
	v_mad_u64_u32 v[4:5], s[0:1], s11, v5, v[4:5]
	v_mad_u64_u32 v[5:6], s[0:1], s10, v11, 0
	v_add_co_u32_e32 v0, vcc, v16, v0
	v_addc_co_u32_e32 v1, vcc, v17, v1, vcc
	v_mov_b32_e32 v2, v6
	s_waitcnt lgkmcnt(0)
	global_store_dwordx2 v[0:1], v[7:8], off
	v_lshlrev_b64 v[0:1], 3, v[3:4]
	v_mad_u64_u32 v[2:3], s[0:1], s11, v11, v[2:3]
	v_add_co_u32_e32 v0, vcc, v16, v0
	v_addc_co_u32_e32 v1, vcc, v17, v1, vcc
	global_store_dwordx2 v[0:1], v[9:10], off
	v_mov_b32_e32 v6, v2
	ds_read_b64 v[0:1], v15 offset:64
	v_lshlrev_b64 v[2:3], 3, v[5:6]
	v_add_co_u32_e32 v2, vcc, v16, v2
	v_addc_co_u32_e32 v3, vcc, v17, v3, vcc
	s_waitcnt lgkmcnt(0)
	global_store_dwordx2 v[2:3], v[0:1], off
	s_endpgm
	.section	.rodata,"a",@progbits
	.p2align	6, 0x0
	.amdhsa_kernel fft_rtc_back_len200_factors_8_5_5_wgs_400_tpt_40_sp_op_CI_CI_sbcr_dirReg_intrinsicReadWrite
		.amdhsa_group_segment_fixed_size 0
		.amdhsa_private_segment_fixed_size 0
		.amdhsa_kernarg_size 104
		.amdhsa_user_sgpr_count 6
		.amdhsa_user_sgpr_private_segment_buffer 1
		.amdhsa_user_sgpr_dispatch_ptr 0
		.amdhsa_user_sgpr_queue_ptr 0
		.amdhsa_user_sgpr_kernarg_segment_ptr 1
		.amdhsa_user_sgpr_dispatch_id 0
		.amdhsa_user_sgpr_flat_scratch_init 0
		.amdhsa_user_sgpr_private_segment_size 0
		.amdhsa_uses_dynamic_stack 0
		.amdhsa_system_sgpr_private_segment_wavefront_offset 0
		.amdhsa_system_sgpr_workgroup_id_x 1
		.amdhsa_system_sgpr_workgroup_id_y 0
		.amdhsa_system_sgpr_workgroup_id_z 0
		.amdhsa_system_sgpr_workgroup_info 0
		.amdhsa_system_vgpr_workitem_id 0
		.amdhsa_next_free_vgpr 25
		.amdhsa_next_free_sgpr 53
		.amdhsa_reserve_vcc 1
		.amdhsa_reserve_flat_scratch 0
		.amdhsa_float_round_mode_32 0
		.amdhsa_float_round_mode_16_64 0
		.amdhsa_float_denorm_mode_32 3
		.amdhsa_float_denorm_mode_16_64 3
		.amdhsa_dx10_clamp 1
		.amdhsa_ieee_mode 1
		.amdhsa_fp16_overflow 0
		.amdhsa_exception_fp_ieee_invalid_op 0
		.amdhsa_exception_fp_denorm_src 0
		.amdhsa_exception_fp_ieee_div_zero 0
		.amdhsa_exception_fp_ieee_overflow 0
		.amdhsa_exception_fp_ieee_underflow 0
		.amdhsa_exception_fp_ieee_inexact 0
		.amdhsa_exception_int_div_zero 0
	.end_amdhsa_kernel
	.text
.Lfunc_end0:
	.size	fft_rtc_back_len200_factors_8_5_5_wgs_400_tpt_40_sp_op_CI_CI_sbcr_dirReg_intrinsicReadWrite, .Lfunc_end0-fft_rtc_back_len200_factors_8_5_5_wgs_400_tpt_40_sp_op_CI_CI_sbcr_dirReg_intrinsicReadWrite
                                        ; -- End function
	.section	.AMDGPU.csdata,"",@progbits
; Kernel info:
; codeLenInByte = 4292
; NumSgprs: 57
; NumVgprs: 25
; ScratchSize: 0
; MemoryBound: 0
; FloatMode: 240
; IeeeMode: 1
; LDSByteSize: 0 bytes/workgroup (compile time only)
; SGPRBlocks: 7
; VGPRBlocks: 6
; NumSGPRsForWavesPerEU: 57
; NumVGPRsForWavesPerEU: 25
; Occupancy: 9
; WaveLimiterHint : 1
; COMPUTE_PGM_RSRC2:SCRATCH_EN: 0
; COMPUTE_PGM_RSRC2:USER_SGPR: 6
; COMPUTE_PGM_RSRC2:TRAP_HANDLER: 0
; COMPUTE_PGM_RSRC2:TGID_X_EN: 1
; COMPUTE_PGM_RSRC2:TGID_Y_EN: 0
; COMPUTE_PGM_RSRC2:TGID_Z_EN: 0
; COMPUTE_PGM_RSRC2:TIDIG_COMP_CNT: 0
	.type	__hip_cuid_dadc5d23710c7622,@object ; @__hip_cuid_dadc5d23710c7622
	.section	.bss,"aw",@nobits
	.globl	__hip_cuid_dadc5d23710c7622
__hip_cuid_dadc5d23710c7622:
	.byte	0                               ; 0x0
	.size	__hip_cuid_dadc5d23710c7622, 1

	.ident	"AMD clang version 19.0.0git (https://github.com/RadeonOpenCompute/llvm-project roc-6.4.0 25133 c7fe45cf4b819c5991fe208aaa96edf142730f1d)"
	.section	".note.GNU-stack","",@progbits
	.addrsig
	.addrsig_sym __hip_cuid_dadc5d23710c7622
	.amdgpu_metadata
---
amdhsa.kernels:
  - .args:
      - .actual_access:  read_only
        .address_space:  global
        .offset:         0
        .size:           8
        .value_kind:     global_buffer
      - .offset:         8
        .size:           8
        .value_kind:     by_value
      - .actual_access:  read_only
        .address_space:  global
        .offset:         16
        .size:           8
        .value_kind:     global_buffer
      - .actual_access:  read_only
        .address_space:  global
        .offset:         24
        .size:           8
        .value_kind:     global_buffer
      - .actual_access:  read_only
        .address_space:  global
        .offset:         32
        .size:           8
        .value_kind:     global_buffer
      - .offset:         40
        .size:           8
        .value_kind:     by_value
      - .actual_access:  read_only
        .address_space:  global
        .offset:         48
        .size:           8
        .value_kind:     global_buffer
      - .actual_access:  read_only
        .address_space:  global
        .offset:         56
        .size:           8
        .value_kind:     global_buffer
      - .offset:         64
        .size:           4
        .value_kind:     by_value
      - .actual_access:  read_only
        .address_space:  global
        .offset:         72
        .size:           8
        .value_kind:     global_buffer
      - .actual_access:  read_only
        .address_space:  global
        .offset:         80
        .size:           8
        .value_kind:     global_buffer
      - .address_space:  global
        .offset:         88
        .size:           8
        .value_kind:     global_buffer
      - .actual_access:  write_only
        .address_space:  global
        .offset:         96
        .size:           8
        .value_kind:     global_buffer
    .group_segment_fixed_size: 0
    .kernarg_segment_align: 8
    .kernarg_segment_size: 104
    .language:       OpenCL C
    .language_version:
      - 2
      - 0
    .max_flat_workgroup_size: 400
    .name:           fft_rtc_back_len200_factors_8_5_5_wgs_400_tpt_40_sp_op_CI_CI_sbcr_dirReg_intrinsicReadWrite
    .private_segment_fixed_size: 0
    .sgpr_count:     57
    .sgpr_spill_count: 0
    .symbol:         fft_rtc_back_len200_factors_8_5_5_wgs_400_tpt_40_sp_op_CI_CI_sbcr_dirReg_intrinsicReadWrite.kd
    .uniform_work_group_size: 1
    .uses_dynamic_stack: false
    .vgpr_count:     25
    .vgpr_spill_count: 0
    .wavefront_size: 64
amdhsa.target:   amdgcn-amd-amdhsa--gfx906
amdhsa.version:
  - 1
  - 2
...

	.end_amdgpu_metadata
